;; amdgpu-corpus repo=ROCm/bitsandbytes kind=harvested arch=n/a opt=n/a
	.text
	.amdgcn_target "amdgcn-amd-amdhsa--gfx1100"
	.amdhsa_code_object_version 6
	.protected	_Z18kQuantizeBlockwiseI6__halfLi4096ELi4ELi1ELi0EEvPfPT_S1_PhS1_ii ; -- Begin function _Z18kQuantizeBlockwiseI6__halfLi4096ELi4ELi1ELi0EEvPfPT_S1_PhS1_ii
	.globl	_Z18kQuantizeBlockwiseI6__halfLi4096ELi4ELi1ELi0EEvPfPT_S1_PhS1_ii
	.p2align	8
	.type	_Z18kQuantizeBlockwiseI6__halfLi4096ELi4ELi1ELi0EEvPfPT_S1_PhS1_ii,@function
_Z18kQuantizeBlockwiseI6__halfLi4096ELi4ELi1ELi0EEvPfPT_S1_PhS1_ii: ; @_Z18kQuantizeBlockwiseI6__halfLi4096ELi4ELi1ELi0EEvPfPT_S1_PhS1_ii
; %bb.0:
	s_clause 0x2
	s_load_b64 s[8:9], s[0:1], 0x8
	s_load_b64 s[4:5], s[0:1], 0x20
	s_load_b32 s6, s[0:1], 0x30
	v_lshlrev_b32_e32 v3, 2, v0
	s_add_u32 s2, s0, 48
	s_addc_u32 s3, s1, 0
	s_mov_b32 s7, exec_lo
	v_cmpx_gt_u32_e32 0x100, v0
	s_cbranch_execz .LBB97_3
; %bb.1:
	s_load_b64 s[10:11], s[0:1], 0x0
	s_load_b32 s2, s[2:3], 0xc
	v_dual_mov_b32 v5, v0 :: v_dual_add_nc_u32 v4, 0x7380, v3
	s_waitcnt lgkmcnt(0)
	v_add_co_u32 v1, s3, s10, v3
	s_delay_alu instid0(VALU_DEP_1)
	v_add_co_ci_u32_e64 v2, null, s11, 0, s3
	s_and_b32 s3, s2, 0xffff
	s_mov_b32 s10, 0
	s_lshl_b32 s11, s3, 2
.LBB97_2:                               ; =>This Inner Loop Header: Depth=1
	global_load_b32 v6, v[1:2], off
	v_add_nc_u32_e32 v5, s3, v5
	v_add_co_u32 v1, vcc_lo, v1, s11
	v_add_co_ci_u32_e32 v2, vcc_lo, 0, v2, vcc_lo
	s_delay_alu instid0(VALU_DEP_3) | instskip(NEXT) | instid1(VALU_DEP_1)
	v_cmp_lt_u32_e64 s2, 0xff, v5
	s_or_b32 s10, s2, s10
	s_waitcnt vmcnt(0)
	ds_store_b32 v4, v6
	v_add_nc_u32_e32 v4, s11, v4
	s_and_not1_b32 exec_lo, exec_lo, s10
	s_cbranch_execnz .LBB97_2
.LBB97_3:
	s_or_b32 exec_lo, exec_lo, s7
	s_waitcnt lgkmcnt(0)
	s_lshl_b32 s26, s6, 12
	s_lshl_b32 s24, s15, 12
	s_delay_alu instid0(SALU_CYCLE_1)
	s_cmp_ge_i32 s24, s26
	s_cbranch_scc1 .LBB97_76
; %bb.4:
	v_mbcnt_lo_u32_b32 v1, -1, 0
	v_and_b32_e32 v2, 0xf80, v3
	s_clause 0x1
	s_load_b128 s[16:19], s[0:1], 0x10
	s_load_b64 s[6:7], s[0:1], 0x28
	v_and_b32_e32 v12, 0x3e0, v0
	v_or_b32_e32 v3, s24, v3
	v_dual_mov_b32 v47, 0xff :: v_dual_lshlrev_b32 v4, 1, v1
	v_or_b32_e32 v13, v1, v2
	v_lshlrev_b32_e32 v5, 1, v2
	s_movk_i32 s1, 0x7780
	s_delay_alu instid0(VALU_DEP_3) | instskip(NEXT) | instid1(VALU_DEP_3)
	v_add_co_u32 v4, s0, s8, v4
	v_or_b32_e32 v15, 0x60, v13
	v_add_co_ci_u32_e64 v6, null, s9, 0, s0
	v_or_b32_e32 v14, 32, v13
	s_delay_alu instid0(VALU_DEP_4)
	v_add_co_u32 v16, vcc_lo, v4, v5
	v_or_b32_e32 v4, v1, v12
	v_lshrrev_b32_e32 v8, 5, v15
	v_add_co_ci_u32_e32 v17, vcc_lo, 0, v6, vcc_lo
	v_lshrrev_b32_e32 v5, 5, v14
	v_lshrrev_b32_e32 v6, 5, v2
	v_bfe_u32 v9, v4, 3, 27
	v_and_b32_e32 v11, 0x7e, v8
	v_lshlrev_b32_e32 v4, 2, v4
	v_and_b32_e32 v7, 0x7c, v5
	v_add_nc_u32_e32 v19, v6, v13
	v_and_b32_e32 v21, 0x7e, v9
	v_add_nc_u32_e32 v6, v11, v15
	v_cmp_gt_u32_e32 vcc_lo, 30, v1
	v_add_nc_u32_e32 v20, v7, v14
	s_waitcnt lgkmcnt(0)
	v_add_nc_u32_e32 v3, s6, v3
	v_add_nc_u32_e32 v7, v21, v4
	v_lshl_add_u32 v24, v6, 1, 0x4200
	v_cndmask_b32_e64 v6, 0, 1, vcc_lo
	v_cmp_ne_u32_e32 vcc_lo, 31, v1
	v_or_b32_e32 v18, 64, v13
	v_lshl_add_u32 v25, v7, 1, 0x4200
	v_add_nc_u32_e32 v27, 1, v1
	v_lshlrev_b32_e32 v6, 1, v6
	v_add_co_ci_u32_e32 v7, vcc_lo, 0, v1, vcc_lo
	v_cmp_gt_u32_e32 vcc_lo, 28, v1
	v_lshrrev_b32_e32 v10, 5, v18
	s_delay_alu instid0(VALU_DEP_4) | instskip(NEXT) | instid1(VALU_DEP_4)
	v_add_lshl_u32 v28, v6, v1, 2
	v_lshlrev_b32_e32 v26, 2, v7
	v_mul_hi_u32 v7, 0x80808081, v3
	v_cndmask_b32_e64 v11, 0, 1, vcc_lo
	v_cmp_gt_u32_e32 vcc_lo, 24, v1
	v_add_nc_u32_e32 v29, 2, v1
	v_add_nc_u32_e32 v33, 8, v1
	;; [unrolled: 1-line block ×3, first 2 shown]
	v_lshlrev_b32_e32 v6, 2, v11
	v_cndmask_b32_e64 v11, 0, 1, vcc_lo
	v_lshrrev_b32_e32 v7, 9, v7
	v_cmp_gt_u32_e32 vcc_lo, 16, v1
	v_cmp_eq_u32_e64 s0, 0, v1
	v_add_lshl_u32 v30, v6, v1, 2
	v_lshlrev_b32_e32 v11, 3, v11
	v_mul_u32_u24_e32 v7, 0x3fc, v7
	v_cndmask_b32_e64 v31, 0, 1, vcc_lo
	v_add_nc_u32_e32 v39, v10, v18
	v_add_lshl_u32 v38, v5, v14, 2
	v_add_lshl_u32 v32, v11, v1, 2
	v_sub_nc_u32_e32 v3, v3, v7
	v_lshlrev_b32_e32 v6, 4, v31
	v_lshlrev_b32_e32 v7, 2, v1
	;; [unrolled: 1-line block ×3, first 2 shown]
	v_add_nc_u32_e32 v31, 4, v1
	v_lshlrev_b32_e32 v3, 2, v3
	v_add_lshl_u32 v34, v6, v1, 2
	v_lshrrev_b32_e32 v6, 3, v0
	v_or_b32_e32 v37, 0x7780, v7
	v_add_co_u32 v1, s8, s18, v1
	v_add_co_u32 v3, s2, s4, v3
	s_delay_alu instid0(VALU_DEP_4) | instskip(SKIP_1) | instid1(VALU_DEP_3)
	v_and_or_b32 v36, 0x7c, v6, s1
	v_add_co_ci_u32_e64 v6, null, s5, 0, s2
	v_add_co_u32 v3, vcc_lo, v3, v7
	v_and_b32_e32 v5, 0x7c, v10
	s_delay_alu instid0(VALU_DEP_3) | instskip(NEXT) | instid1(VALU_DEP_3)
	v_add_co_ci_u32_e32 v7, vcc_lo, 0, v6, vcc_lo
	v_add_co_u32 v6, vcc_lo, v3, v11
	v_and_b32_e32 v3, 0x7c, v9
	v_add_lshl_u32 v41, v9, v4, 2
	s_delay_alu instid0(VALU_DEP_4) | instskip(SKIP_1) | instid1(VALU_DEP_4)
	v_add_co_ci_u32_e32 v7, vcc_lo, 0, v7, vcc_lo
	v_add_co_u32 v45, vcc_lo, v1, v2
	v_add_nc_u32_e32 v42, v3, v4
	v_and_b32_e32 v3, 0x7c, v8
	v_add_co_ci_u32_e64 v4, null, s19, 0, s8
	v_lshl_add_u32 v21, v19, 1, 0x4200
	v_lshl_add_u32 v22, v20, 1, 0x4200
	;; [unrolled: 1-line block ×3, first 2 shown]
	v_cmp_gt_u32_e64 s1, 32, v0
	v_cmp_eq_u32_e64 s2, 0, v0
	v_cmp_gt_u32_e64 s3, 0x1000, v13
	v_cmp_gt_u32_e64 s4, 0x1000, v14
	;; [unrolled: 1-line block ×4, first 2 shown]
	v_lshlrev_b32_e32 v0, 2, v19
	v_lshlrev_b32_e32 v39, 2, v39
	v_add_lshl_u32 v40, v8, v15, 2
	v_add_nc_u32_e32 v43, v5, v18
	v_add_nc_u32_e32 v44, v3, v15
	v_add_co_ci_u32_e32 v46, vcc_lo, 0, v4, vcc_lo
	v_mov_b32_e32 v1, 0
	s_sub_i32 s18, s7, s24
	s_mov_b32 s20, 0
	s_branch .LBB97_6
.LBB97_5:                               ;   in Loop: Header=BB97_6 Depth=1
	s_or_b32 exec_lo, exec_lo, s7
	s_add_i32 s24, s24, s26
	s_sub_i32 s18, s18, s26
	s_cmp_ge_i32 s24, s26
	s_cbranch_scc1 .LBB97_76
.LBB97_6:                               ; =>This Inner Loop Header: Depth=1
	s_ashr_i32 s25, s24, 31
	s_min_i32 s19, s18, 0x1000
	s_lshl_b64 s[8:9], s[24:25], 1
	v_cmp_gt_u32_e64 s7, s19, v13
	v_add_co_u32 v2, vcc_lo, v16, s8
	v_add_co_ci_u32_e32 v3, vcc_lo, s9, v17, vcc_lo
	s_waitcnt lgkmcnt(0)
	v_mov_b32_e32 v4, 0
	s_waitcnt_vscnt null, 0x0
	s_barrier
	buffer_gl0_inv
	s_and_saveexec_b32 s8, s7
	s_cbranch_execz .LBB97_8
; %bb.7:                                ;   in Loop: Header=BB97_6 Depth=1
	global_load_u16 v4, v[2:3], off
.LBB97_8:                               ;   in Loop: Header=BB97_6 Depth=1
	s_or_b32 exec_lo, exec_lo, s8
	v_cmp_gt_u32_e64 s8, s19, v14
	v_dual_mov_b32 v5, 0 :: v_dual_mov_b32 v8, 0
	s_delay_alu instid0(VALU_DEP_2)
	s_and_saveexec_b32 s9, s8
	s_cbranch_execz .LBB97_10
; %bb.9:                                ;   in Loop: Header=BB97_6 Depth=1
	global_load_u16 v8, v[2:3], off offset:64
.LBB97_10:                              ;   in Loop: Header=BB97_6 Depth=1
	s_or_b32 exec_lo, exec_lo, s9
	v_cmp_gt_u32_e64 s9, s19, v18
	s_delay_alu instid0(VALU_DEP_1)
	s_and_saveexec_b32 s10, s9
	s_cbranch_execz .LBB97_12
; %bb.11:                               ;   in Loop: Header=BB97_6 Depth=1
	global_load_u16 v5, v[2:3], off offset:128
.LBB97_12:                              ;   in Loop: Header=BB97_6 Depth=1
	s_or_b32 exec_lo, exec_lo, s10
	v_cmp_gt_u32_e64 s10, s19, v15
	v_mov_b32_e32 v9, 0
	s_delay_alu instid0(VALU_DEP_2)
	s_and_saveexec_b32 s11, s10
	s_cbranch_execz .LBB97_14
; %bb.13:                               ;   in Loop: Header=BB97_6 Depth=1
	global_load_u16 v9, v[2:3], off offset:192
.LBB97_14:                              ;   in Loop: Header=BB97_6 Depth=1
	s_or_b32 exec_lo, exec_lo, s11
	s_waitcnt vmcnt(0)
	ds_store_b16 v21, v4
	ds_store_b16 v22, v8
	;; [unrolled: 1-line block ×4, first 2 shown]
	; wave barrier
	ds_load_b64 v[10:11], v25
	s_waitcnt lgkmcnt(0)
	v_lshrrev_b32_e32 v54, 16, v10
	v_lshrrev_b32_e32 v48, 16, v11
	v_cvt_f32_f16_e64 v2, |v10|
	v_cvt_f32_f16_e64 v4, |v11|
	s_delay_alu instid0(VALU_DEP_4) | instskip(NEXT) | instid1(VALU_DEP_4)
	v_cvt_f32_f16_e64 v3, |v54|
	v_cvt_f32_f16_e64 v5, |v48|
	s_delay_alu instid0(VALU_DEP_2) | instskip(NEXT) | instid1(VALU_DEP_1)
	v_max3_f32 v2, v2, 0xff7fffff, v3
	v_max3_f32 v2, v2, v4, v5
	v_sub_nc_u32_e64 v4, s19, v12 clamp
	ds_bpermute_b32 v3, v26, v2
	v_cmp_lt_u32_e64 s14, v35, v4
	s_waitcnt lgkmcnt(0)
	v_cmp_lt_f32_e32 vcc_lo, v2, v3
	v_cndmask_b32_e32 v3, v2, v3, vcc_lo
	v_cmp_lt_u32_e32 vcc_lo, v27, v4
	s_delay_alu instid0(VALU_DEP_2) | instskip(SKIP_3) | instid1(VALU_DEP_1)
	v_cndmask_b32_e32 v3, v2, v3, vcc_lo
	ds_bpermute_b32 v5, v28, v3
	s_waitcnt lgkmcnt(0)
	v_cmp_lt_f32_e64 s11, v3, v5
	v_cndmask_b32_e64 v5, v3, v5, s11
	v_cmp_lt_u32_e64 s11, v29, v4
	s_delay_alu instid0(VALU_DEP_1) | instskip(SKIP_4) | instid1(VALU_DEP_1)
	v_cndmask_b32_e64 v3, v3, v5, s11
	s_or_b32 s11, vcc_lo, s11
	ds_bpermute_b32 v5, v30, v3
	s_waitcnt lgkmcnt(0)
	v_cmp_lt_f32_e64 s12, v3, v5
	v_cndmask_b32_e64 v5, v3, v5, s12
	v_cmp_lt_u32_e64 s12, v31, v4
	s_delay_alu instid0(VALU_DEP_1) | instskip(SKIP_4) | instid1(VALU_DEP_1)
	v_cndmask_b32_e64 v3, v3, v5, s12
	s_or_b32 s11, s12, s11
	ds_bpermute_b32 v5, v32, v3
	s_waitcnt lgkmcnt(0)
	v_cmp_lt_f32_e64 s13, v3, v5
	v_cndmask_b32_e64 v5, v3, v5, s13
	v_cmp_lt_u32_e64 s13, v33, v4
	s_delay_alu instid0(VALU_DEP_1) | instskip(SKIP_4) | instid1(VALU_DEP_1)
	v_cndmask_b32_e64 v3, v3, v5, s13
	s_or_b32 s11, s13, s11
	ds_bpermute_b32 v5, v34, v3
	s_waitcnt lgkmcnt(0)
	v_cmp_lt_f32_e64 s15, v3, v5
	s_and_b32 vcc_lo, s14, s15
	v_cndmask_b32_e32 v3, v3, v5, vcc_lo
	s_or_b32 vcc_lo, s14, s11
	s_delay_alu instid0(VALU_DEP_1)
	v_cndmask_b32_e32 v2, v2, v3, vcc_lo
	s_and_saveexec_b32 s11, s0
	s_cbranch_execz .LBB97_16
; %bb.15:                               ;   in Loop: Header=BB97_6 Depth=1
	ds_store_b32 v36, v2
.LBB97_16:                              ;   in Loop: Header=BB97_6 Depth=1
	s_or_b32 exec_lo, exec_lo, s11
	s_waitcnt lgkmcnt(0)
	s_barrier
	buffer_gl0_inv
	s_and_saveexec_b32 s21, s1
	s_cbranch_execz .LBB97_18
; %bb.17:                               ;   in Loop: Header=BB97_6 Depth=1
	ds_load_b32 v2, v37
	s_add_i32 s19, s19, 31
	s_delay_alu instid0(SALU_CYCLE_1)
	s_lshr_b32 s14, s19, 5
	s_waitcnt lgkmcnt(0)
	ds_bpermute_b32 v3, v26, v2
	s_waitcnt lgkmcnt(0)
	v_cmp_lt_f32_e32 vcc_lo, v2, v3
	v_cndmask_b32_e32 v3, v2, v3, vcc_lo
	v_cmp_gt_u32_e32 vcc_lo, s14, v27
	s_delay_alu instid0(VALU_DEP_2) | instskip(SKIP_3) | instid1(VALU_DEP_1)
	v_cndmask_b32_e32 v3, v2, v3, vcc_lo
	ds_bpermute_b32 v4, v28, v3
	s_waitcnt lgkmcnt(0)
	v_cmp_lt_f32_e64 s11, v3, v4
	v_cndmask_b32_e64 v4, v3, v4, s11
	v_cmp_gt_u32_e64 s11, s14, v29
	s_delay_alu instid0(VALU_DEP_1) | instskip(SKIP_4) | instid1(VALU_DEP_1)
	v_cndmask_b32_e64 v3, v3, v4, s11
	s_or_b32 s11, vcc_lo, s11
	ds_bpermute_b32 v4, v30, v3
	s_waitcnt lgkmcnt(0)
	v_cmp_lt_f32_e64 s12, v3, v4
	v_cndmask_b32_e64 v4, v3, v4, s12
	v_cmp_gt_u32_e64 s12, s14, v31
	s_delay_alu instid0(VALU_DEP_1) | instskip(SKIP_4) | instid1(VALU_DEP_1)
	v_cndmask_b32_e64 v3, v3, v4, s12
	s_or_b32 s11, s12, s11
	ds_bpermute_b32 v4, v32, v3
	s_waitcnt lgkmcnt(0)
	v_cmp_lt_f32_e64 s13, v3, v4
	v_cndmask_b32_e64 v4, v3, v4, s13
	v_cmp_gt_u32_e64 s13, s14, v33
	v_cmp_gt_u32_e64 s14, s14, v35
	s_delay_alu instid0(VALU_DEP_2) | instskip(SKIP_4) | instid1(VALU_DEP_1)
	v_cndmask_b32_e64 v3, v3, v4, s13
	s_or_b32 s11, s13, s11
	ds_bpermute_b32 v4, v34, v3
	s_waitcnt lgkmcnt(0)
	v_cmp_lt_f32_e64 s15, v3, v4
	s_and_b32 vcc_lo, s14, s15
	v_cndmask_b32_e32 v3, v3, v4, vcc_lo
	s_or_b32 vcc_lo, s14, s11
	s_delay_alu instid0(VALU_DEP_1)
	v_cndmask_b32_e32 v2, v2, v3, vcc_lo
.LBB97_18:                              ;   in Loop: Header=BB97_6 Depth=1
	s_or_b32 exec_lo, exec_lo, s21
	s_and_saveexec_b32 s11, s2
	s_cbranch_execz .LBB97_20
; %bb.19:                               ;   in Loop: Header=BB97_6 Depth=1
	s_delay_alu instid0(VALU_DEP_1) | instskip(SKIP_2) | instid1(VALU_DEP_2)
	v_div_scale_f32 v3, null, v2, v2, 1.0
	v_div_scale_f32 v8, vcc_lo, 1.0, v2, 1.0
	s_ashr_i32 s12, s24, 12
	v_rcp_f32_e32 v4, v3
	s_ashr_i32 s13, s12, 31
	s_delay_alu instid0(SALU_CYCLE_1) | instskip(NEXT) | instid1(SALU_CYCLE_1)
	s_lshl_b64 s[12:13], s[12:13], 2
	s_add_u32 s12, s16, s12
	s_addc_u32 s13, s17, s13
	global_store_b32 v1, v2, s[12:13]
	v_fma_f32 v5, -v3, v4, 1.0
	s_delay_alu instid0(VALU_DEP_1) | instskip(NEXT) | instid1(VALU_DEP_1)
	v_fmac_f32_e32 v4, v5, v4
	v_mul_f32_e32 v5, v8, v4
	s_delay_alu instid0(VALU_DEP_1) | instskip(NEXT) | instid1(VALU_DEP_1)
	v_fma_f32 v9, -v3, v5, v8
	v_fmac_f32_e32 v5, v9, v4
	s_delay_alu instid0(VALU_DEP_1) | instskip(NEXT) | instid1(VALU_DEP_1)
	v_fma_f32 v3, -v3, v5, v8
	v_div_fmas_f32 v3, v3, v4, v5
	s_delay_alu instid0(VALU_DEP_1)
	v_div_fixup_f32 v3, v3, v2, 1.0
	ds_store_b32 v1, v3 offset:30720
.LBB97_20:                              ;   in Loop: Header=BB97_6 Depth=1
	s_or_b32 exec_lo, exec_lo, s11
	s_waitcnt lgkmcnt(0)
	s_waitcnt_vscnt null, 0x0
	s_barrier
	buffer_gl0_inv
	ds_load_b32 v52, v1 offset:30720
	s_mov_b32 s21, s20
	s_mov_b32 s22, s20
	;; [unrolled: 1-line block ×3, first 2 shown]
	v_dual_mov_b32 v2, s20 :: v_dual_mov_b32 v3, s21
	v_dual_mov_b32 v4, s22 :: v_dual_mov_b32 v5, s23
	v_mov_b32_e32 v8, 0
	s_and_saveexec_b32 s11, s3
	s_cbranch_execnz .LBB97_69
; %bb.21:                               ;   in Loop: Header=BB97_6 Depth=1
	s_or_b32 exec_lo, exec_lo, s11
	s_and_saveexec_b32 s11, s4
	s_cbranch_execnz .LBB97_70
.LBB97_22:                              ;   in Loop: Header=BB97_6 Depth=1
	s_or_b32 exec_lo, exec_lo, s11
	s_and_saveexec_b32 s11, s5
	s_cbranch_execnz .LBB97_71
.LBB97_23:                              ;   in Loop: Header=BB97_6 Depth=1
	s_or_b32 exec_lo, exec_lo, s11
	s_and_saveexec_b32 s11, s6
	s_cbranch_execz .LBB97_25
.LBB97_24:                              ;   in Loop: Header=BB97_6 Depth=1
	global_load_b32 v5, v[6:7], off offset:384
.LBB97_25:                              ;   in Loop: Header=BB97_6 Depth=1
	s_or_b32 exec_lo, exec_lo, s11
	v_add_nc_u32_e64 v2, 0x7200, 0
	s_waitcnt vmcnt(0)
	ds_store_b32 v0, v8
	ds_store_b32 v38, v3
	;; [unrolled: 1-line block ×4, first 2 shown]
	; wave barrier
	ds_load_2addr_b32 v[8:9], v2 offset0:96 offset1:223
	v_cvt_f32_f16_e32 v2, v10
	s_mov_b32 s13, exec_lo
	s_waitcnt lgkmcnt(5)
	s_delay_alu instid0(VALU_DEP_1) | instskip(SKIP_1) | instid1(VALU_DEP_1)
	v_mul_f32_e32 v55, v52, v2
	s_waitcnt lgkmcnt(0)
	v_cmp_lt_f32_e32 vcc_lo, v9, v55
	v_cndmask_b32_e64 v56, 63, 0xbf, vcc_lo
	v_cndmask_b32_e64 v60, 0, 0x7f, vcc_lo
	s_delay_alu instid0(VALU_DEP_2) | instskip(SKIP_4) | instid1(VALU_DEP_1)
	v_dual_cndmask_b32 v51, -1.0, v9 :: v_dual_lshlrev_b32 v2, 2, v56
	ds_load_b32 v59, v2 offset:29568
	v_add_nc_u32_e32 v2, 0x7380, v2
	s_waitcnt lgkmcnt(0)
	v_cmp_lt_f32_e64 s11, v59, v55
	v_cndmask_b32_e64 v50, 0xffffffe0, 32, s11
	v_cndmask_b32_e64 v57, v51, v59, s11
	;; [unrolled: 1-line block ×3, first 2 shown]
	s_delay_alu instid0(VALU_DEP_3)
	v_lshl_add_u32 v53, v50, 2, v2
	v_add_nc_u32_e32 v50, v56, v50
	v_mov_b32_e32 v58, -16
	ds_load_b32 v49, v53
	ds_load_2addr_b32 v[4:5], v41 offset1:1
	ds_load_2addr_b32 v[2:3], v41 offset0:2 offset1:3
	ds_load_b32 v10, v1 offset:30588
	v_mov_b32_e32 v51, v50
	s_waitcnt lgkmcnt(3)
	v_cmpx_lt_f32_e32 v49, v55
; %bb.26:                               ;   in Loop: Header=BB97_6 Depth=1
	v_cndmask_b32_e64 v51, v9, 1.0, vcc_lo
	v_dual_cndmask_b32 v60, 0x7f, v47 :: v_dual_mov_b32 v57, v49
	v_mov_b32_e32 v61, v50
	s_delay_alu instid0(VALU_DEP_3) | instskip(SKIP_1) | instid1(VALU_DEP_4)
	v_cndmask_b32_e64 v59, v59, v51, s11
	v_mov_b32_e32 v58, 16
	v_cndmask_b32_e64 v51, v56, v60, s11
	s_delay_alu instid0(VALU_DEP_3)
	v_mov_b32_e32 v49, v59
; %bb.27:                               ;   in Loop: Header=BB97_6 Depth=1
	s_or_b32 exec_lo, exec_lo, s13
	s_delay_alu instid0(VALU_DEP_3)
	v_lshl_add_u32 v53, v58, 2, v53
	v_add_nc_u32_e32 v63, v58, v50
	s_mov_b32 s12, exec_lo
	v_mov_b32_e32 v59, -4
	ds_load_b32 v62, v53
	s_waitcnt lgkmcnt(0)
	v_cmp_lt_f32_e32 vcc_lo, v62, v55
	v_cndmask_b32_e64 v56, -8, 8, vcc_lo
	s_delay_alu instid0(VALU_DEP_1)
	v_lshl_add_u32 v60, v56, 2, v53
	v_add_nc_u32_e32 v50, v56, v63
	v_cndmask_b32_e32 v56, v57, v62, vcc_lo
	v_cndmask_b32_e32 v61, v61, v63, vcc_lo
	ds_load_b32 v53, v60
	v_mov_b32_e32 v58, v50
	s_waitcnt lgkmcnt(0)
	v_cmpx_lt_f32_e32 v53, v55
; %bb.28:                               ;   in Loop: Header=BB97_6 Depth=1
	v_dual_cndmask_b32 v49, v62, v49 :: v_dual_cndmask_b32 v58, v63, v51
	v_dual_mov_b32 v59, 4 :: v_dual_mov_b32 v56, v53
	v_mov_b32_e32 v61, v50
	s_delay_alu instid0(VALU_DEP_3)
	v_mov_b32_e32 v53, v49
; %bb.29:                               ;   in Loop: Header=BB97_6 Depth=1
	s_or_b32 exec_lo, exec_lo, s12
	s_delay_alu instid0(VALU_DEP_3)
	v_lshl_add_u32 v49, v59, 2, v60
	v_dual_mov_b32 v50, -1 :: v_dual_add_nc_u32 v63, v59, v50
	s_mov_b32 s12, exec_lo
	ds_load_b32 v62, v49
	s_waitcnt lgkmcnt(0)
	v_cmp_lt_f32_e32 vcc_lo, v62, v55
	v_cndmask_b32_e64 v51, -2, 2, vcc_lo
	s_delay_alu instid0(VALU_DEP_1)
	v_lshl_add_u32 v60, v51, 2, v49
	v_add_nc_u32_e32 v49, v51, v63
	v_cndmask_b32_e32 v59, v56, v62, vcc_lo
	v_cndmask_b32_e32 v51, v61, v63, vcc_lo
	ds_load_b32 v57, v60
	v_mov_b32_e32 v56, v49
	s_waitcnt lgkmcnt(0)
	v_cmpx_lt_f32_e32 v57, v55
; %bb.30:                               ;   in Loop: Header=BB97_6 Depth=1
	v_dual_cndmask_b32 v51, v62, v53 :: v_dual_cndmask_b32 v56, v63, v58
	v_dual_mov_b32 v50, 1 :: v_dual_mov_b32 v59, v57
	s_delay_alu instid0(VALU_DEP_2)
	v_mov_b32_e32 v57, v51
	v_mov_b32_e32 v51, v49
; %bb.31:                               ;   in Loop: Header=BB97_6 Depth=1
	s_or_b32 exec_lo, exec_lo, s12
	s_delay_alu instid0(VALU_DEP_3)
	v_lshl_add_u32 v53, v50, 2, v60
	s_mov_b32 s11, exec_lo
	ds_load_b32 v58, v53
                                        ; implicit-def: $vgpr53
	s_waitcnt lgkmcnt(0)
	v_cmpx_nlt_f32_e32 v58, v55
	s_xor_b32 s11, exec_lo, s11
	s_cbranch_execz .LBB97_33
; %bb.32:                               ;   in Loop: Header=BB97_6 Depth=1
	v_cmp_eq_u32_e32 vcc_lo, 0, v51
	v_cndmask_b32_e32 v53, v59, v8, vcc_lo
	s_delay_alu instid0(VALU_DEP_1) | instskip(NEXT) | instid1(VALU_DEP_1)
	v_sub_f32_e32 v55, v53, v55
	v_dual_sub_f32 v53, v58, v53 :: v_dual_and_b32 v56, 0x7fffffff, v55
	s_delay_alu instid0(VALU_DEP_1) | instskip(SKIP_1) | instid1(VALU_DEP_2)
	v_div_scale_f32 v57, null, v53, v53, v56
	v_div_scale_f32 v56, vcc_lo, v56, v53, v56
	v_rcp_f32_e32 v58, v57
	s_waitcnt_depctr 0xfff
	v_fma_f32 v59, -v57, v58, 1.0
	s_delay_alu instid0(VALU_DEP_1) | instskip(NEXT) | instid1(VALU_DEP_1)
	v_fmac_f32_e32 v58, v59, v58
	v_mul_f32_e32 v59, v56, v58
	s_delay_alu instid0(VALU_DEP_1) | instskip(NEXT) | instid1(VALU_DEP_1)
	v_fma_f32 v60, -v57, v59, v56
	v_fmac_f32_e32 v59, v60, v58
	s_delay_alu instid0(VALU_DEP_1) | instskip(NEXT) | instid1(VALU_DEP_1)
	v_fma_f32 v56, -v57, v59, v56
                                        ; implicit-def: $vgpr57
	v_div_fmas_f32 v56, v56, v58, v59
                                        ; implicit-def: $vgpr58
	s_delay_alu instid0(VALU_DEP_1)
	v_div_fixup_f32 v53, v56, v53, |v55|
                                        ; implicit-def: $vgpr56
                                        ; implicit-def: $vgpr55
.LBB97_33:                              ;   in Loop: Header=BB97_6 Depth=1
	s_and_not1_saveexec_b32 s11, s11
	s_cbranch_execz .LBB97_35
; %bb.34:                               ;   in Loop: Header=BB97_6 Depth=1
	v_cmp_eq_u32_e32 vcc_lo, 0xff, v56
	v_cndmask_b32_e32 v51, v57, v10, vcc_lo
	s_delay_alu instid0(VALU_DEP_1) | instskip(SKIP_1) | instid1(VALU_DEP_2)
	v_sub_f32_e32 v53, v51, v55
	v_sub_f32_e32 v51, v51, v58
	v_and_b32_e32 v55, 0x7fffffff, v53
	s_delay_alu instid0(VALU_DEP_1) | instskip(NEXT) | instid1(VALU_DEP_1)
	v_div_scale_f32 v57, null, v51, v51, v55
	v_rcp_f32_e32 v58, v57
	s_waitcnt_depctr 0xfff
	v_fma_f32 v59, -v57, v58, 1.0
	s_delay_alu instid0(VALU_DEP_1) | instskip(SKIP_1) | instid1(VALU_DEP_1)
	v_fmac_f32_e32 v58, v59, v58
	v_div_scale_f32 v55, vcc_lo, v55, v51, v55
	v_mul_f32_e32 v59, v55, v58
	s_delay_alu instid0(VALU_DEP_1) | instskip(NEXT) | instid1(VALU_DEP_1)
	v_fma_f32 v60, -v57, v59, v55
	v_fmac_f32_e32 v59, v60, v58
	s_delay_alu instid0(VALU_DEP_1) | instskip(NEXT) | instid1(VALU_DEP_1)
	v_fma_f32 v55, -v57, v59, v55
	v_div_fmas_f32 v55, v55, v58, v59
	s_delay_alu instid0(VALU_DEP_1)
	v_div_fixup_f32 v53, v55, v51, |v53|
	v_mov_b32_e32 v51, v56
.LBB97_35:                              ;   in Loop: Header=BB97_6 Depth=1
	s_or_b32 exec_lo, exec_lo, s11
	v_cvt_f32_f16_e32 v54, v54
	s_mov_b32 s13, exec_lo
	s_delay_alu instid0(VALU_DEP_1) | instskip(NEXT) | instid1(VALU_DEP_1)
	v_dual_mov_b32 v61, -16 :: v_dual_mul_f32 v58, v52, v54
	v_cmp_lt_f32_e32 vcc_lo, v9, v58
	v_cndmask_b32_e64 v60, 63, 0xbf, vcc_lo
	v_cndmask_b32_e64 v63, 0, 0x7f, vcc_lo
	s_delay_alu instid0(VALU_DEP_2) | instskip(SKIP_4) | instid1(VALU_DEP_1)
	v_lshlrev_b32_e32 v54, 2, v60
	ds_load_b32 v62, v54 offset:29568
	v_add_nc_u32_e32 v54, 0x7380, v54
	s_waitcnt lgkmcnt(0)
	v_cmp_lt_f32_e64 s11, v62, v58
	v_cndmask_b32_e64 v55, 0xffffffe0, 32, s11
	v_cndmask_b32_e32 v56, -1.0, v9, vcc_lo
	v_cndmask_b32_e64 v63, v63, v60, s11
	s_delay_alu instid0(VALU_DEP_3) | instskip(SKIP_1) | instid1(VALU_DEP_4)
	v_lshl_add_u32 v57, v55, 2, v54
	v_add_nc_u32_e32 v55, v60, v55
	v_cndmask_b32_e64 v59, v56, v62, s11
	ds_load_b32 v54, v57
	v_mov_b32_e32 v56, v55
	s_waitcnt lgkmcnt(0)
	v_cmpx_lt_f32_e32 v54, v58
; %bb.36:                               ;   in Loop: Header=BB97_6 Depth=1
	v_cndmask_b32_e64 v56, v9, 1.0, vcc_lo
	v_mov_b32_e32 v61, 16
	v_mov_b32_e32 v59, v54
	s_delay_alu instid0(VALU_DEP_3) | instskip(NEXT) | instid1(VALU_DEP_1)
	v_cndmask_b32_e64 v62, v62, v56, s11
	v_dual_cndmask_b32 v63, 0x7f, v47 :: v_dual_mov_b32 v54, v62
	s_delay_alu instid0(VALU_DEP_1)
	v_cndmask_b32_e64 v56, v60, v63, s11
	v_mov_b32_e32 v63, v55
; %bb.37:                               ;   in Loop: Header=BB97_6 Depth=1
	s_or_b32 exec_lo, exec_lo, s13
	v_lshl_add_u32 v57, v61, 2, v57
	v_add_nc_u32_e32 v65, v61, v55
	s_mov_b32 s12, exec_lo
	ds_load_b32 v64, v57
	s_waitcnt lgkmcnt(0)
	v_cmp_lt_f32_e32 vcc_lo, v64, v58
	v_cndmask_b32_e64 v62, -8, 8, vcc_lo
	v_cndmask_b32_e32 v59, v59, v64, vcc_lo
	s_delay_alu instid0(VALU_DEP_2)
	v_lshl_add_u32 v60, v62, 2, v57
	v_dual_mov_b32 v62, -4 :: v_dual_add_nc_u32 v55, v62, v65
	v_cndmask_b32_e32 v63, v63, v65, vcc_lo
	ds_load_b32 v57, v60
	v_mov_b32_e32 v61, v55
	s_waitcnt lgkmcnt(0)
	v_cmpx_lt_f32_e32 v57, v58
; %bb.38:                               ;   in Loop: Header=BB97_6 Depth=1
	v_dual_cndmask_b32 v54, v64, v54 :: v_dual_cndmask_b32 v61, v65, v56
	v_dual_mov_b32 v62, 4 :: v_dual_mov_b32 v59, v57
	v_mov_b32_e32 v63, v55
	s_delay_alu instid0(VALU_DEP_3)
	v_mov_b32_e32 v57, v54
; %bb.39:                               ;   in Loop: Header=BB97_6 Depth=1
	s_or_b32 exec_lo, exec_lo, s12
	s_delay_alu instid0(VALU_DEP_3)
	v_lshl_add_u32 v54, v62, 2, v60
	v_dual_mov_b32 v55, -1 :: v_dual_add_nc_u32 v66, v62, v55
	s_mov_b32 s12, exec_lo
	ds_load_b32 v65, v54
	s_waitcnt lgkmcnt(0)
	v_cmp_lt_f32_e32 vcc_lo, v65, v58
	v_cndmask_b32_e64 v56, -2, 2, vcc_lo
	s_delay_alu instid0(VALU_DEP_1)
	v_lshl_add_u32 v64, v56, 2, v54
	v_add_nc_u32_e32 v54, v56, v66
	v_cndmask_b32_e32 v62, v59, v65, vcc_lo
	v_cndmask_b32_e32 v56, v63, v66, vcc_lo
	ds_load_b32 v60, v64
	v_mov_b32_e32 v59, v54
	s_waitcnt lgkmcnt(0)
	v_cmpx_lt_f32_e32 v60, v58
; %bb.40:                               ;   in Loop: Header=BB97_6 Depth=1
	v_dual_cndmask_b32 v56, v65, v57 :: v_dual_mov_b32 v55, 1
	v_dual_cndmask_b32 v59, v66, v61 :: v_dual_mov_b32 v62, v60
	s_delay_alu instid0(VALU_DEP_2)
	v_mov_b32_e32 v60, v56
	v_mov_b32_e32 v56, v54
; %bb.41:                               ;   in Loop: Header=BB97_6 Depth=1
	s_or_b32 exec_lo, exec_lo, s12
	v_lshl_add_u32 v57, v55, 2, v64
	s_mov_b32 s11, exec_lo
	ds_load_b32 v61, v57
                                        ; implicit-def: $vgpr57
	s_waitcnt lgkmcnt(0)
	v_cmpx_nlt_f32_e32 v61, v58
	s_xor_b32 s11, exec_lo, s11
	s_cbranch_execz .LBB97_43
; %bb.42:                               ;   in Loop: Header=BB97_6 Depth=1
	v_cmp_eq_u32_e32 vcc_lo, 0, v56
	v_cndmask_b32_e32 v57, v62, v8, vcc_lo
	s_delay_alu instid0(VALU_DEP_1) | instskip(SKIP_1) | instid1(VALU_DEP_2)
	v_sub_f32_e32 v58, v57, v58
	v_sub_f32_e32 v57, v61, v57
	v_and_b32_e32 v59, 0x7fffffff, v58
	s_delay_alu instid0(VALU_DEP_1) | instskip(SKIP_1) | instid1(VALU_DEP_2)
	v_div_scale_f32 v60, null, v57, v57, v59
	v_div_scale_f32 v59, vcc_lo, v59, v57, v59
	v_rcp_f32_e32 v61, v60
	s_waitcnt_depctr 0xfff
	v_fma_f32 v62, -v60, v61, 1.0
	s_delay_alu instid0(VALU_DEP_1) | instskip(NEXT) | instid1(VALU_DEP_1)
	v_fmac_f32_e32 v61, v62, v61
	v_mul_f32_e32 v62, v59, v61
	s_delay_alu instid0(VALU_DEP_1) | instskip(NEXT) | instid1(VALU_DEP_1)
	v_fma_f32 v63, -v60, v62, v59
	v_fmac_f32_e32 v62, v63, v61
	s_delay_alu instid0(VALU_DEP_1) | instskip(NEXT) | instid1(VALU_DEP_1)
	v_fma_f32 v59, -v60, v62, v59
                                        ; implicit-def: $vgpr60
	v_div_fmas_f32 v59, v59, v61, v62
                                        ; implicit-def: $vgpr61
	s_delay_alu instid0(VALU_DEP_1)
	v_div_fixup_f32 v57, v59, v57, |v58|
                                        ; implicit-def: $vgpr59
                                        ; implicit-def: $vgpr58
.LBB97_43:                              ;   in Loop: Header=BB97_6 Depth=1
	s_and_not1_saveexec_b32 s11, s11
	s_cbranch_execz .LBB97_45
; %bb.44:                               ;   in Loop: Header=BB97_6 Depth=1
	v_cmp_eq_u32_e32 vcc_lo, 0xff, v59
	v_cndmask_b32_e32 v56, v60, v10, vcc_lo
	s_delay_alu instid0(VALU_DEP_1) | instskip(SKIP_1) | instid1(VALU_DEP_2)
	v_sub_f32_e32 v57, v56, v58
	v_sub_f32_e32 v56, v56, v61
	v_and_b32_e32 v58, 0x7fffffff, v57
	s_delay_alu instid0(VALU_DEP_1) | instskip(SKIP_1) | instid1(VALU_DEP_2)
	v_div_scale_f32 v60, null, v56, v56, v58
	v_div_scale_f32 v58, vcc_lo, v58, v56, v58
	v_rcp_f32_e32 v61, v60
	s_waitcnt_depctr 0xfff
	v_fma_f32 v62, -v60, v61, 1.0
	s_delay_alu instid0(VALU_DEP_1) | instskip(NEXT) | instid1(VALU_DEP_1)
	v_fmac_f32_e32 v61, v62, v61
	v_mul_f32_e32 v62, v58, v61
	s_delay_alu instid0(VALU_DEP_1) | instskip(NEXT) | instid1(VALU_DEP_1)
	v_fma_f32 v63, -v60, v62, v58
	v_fmac_f32_e32 v62, v63, v61
	s_delay_alu instid0(VALU_DEP_1) | instskip(NEXT) | instid1(VALU_DEP_1)
	v_fma_f32 v58, -v60, v62, v58
	v_div_fmas_f32 v58, v58, v61, v62
	s_delay_alu instid0(VALU_DEP_1)
	v_div_fixup_f32 v57, v58, v56, |v57|
	v_mov_b32_e32 v56, v59
.LBB97_45:                              ;   in Loop: Header=BB97_6 Depth=1
	s_or_b32 exec_lo, exec_lo, s11
	v_cvt_f32_f16_e32 v11, v11
	s_mov_b32 s13, exec_lo
	s_delay_alu instid0(VALU_DEP_1) | instskip(NEXT) | instid1(VALU_DEP_1)
	v_dual_mov_b32 v64, -16 :: v_dual_mul_f32 v61, v52, v11
	v_cmp_lt_f32_e32 vcc_lo, v9, v61
	v_cndmask_b32_e64 v63, 63, 0xbf, vcc_lo
	v_cndmask_b32_e32 v59, -1.0, v9, vcc_lo
	v_cndmask_b32_e64 v66, 0, 0x7f, vcc_lo
	s_delay_alu instid0(VALU_DEP_3) | instskip(SKIP_4) | instid1(VALU_DEP_1)
	v_lshlrev_b32_e32 v11, 2, v63
	ds_load_b32 v65, v11 offset:29568
	v_add_nc_u32_e32 v11, 0x7380, v11
	s_waitcnt lgkmcnt(0)
	v_cmp_lt_f32_e64 s11, v65, v61
	v_cndmask_b32_e64 v58, 0xffffffe0, 32, s11
	v_cndmask_b32_e64 v62, v59, v65, s11
	;; [unrolled: 1-line block ×3, first 2 shown]
	s_delay_alu instid0(VALU_DEP_3)
	v_lshl_add_u32 v60, v58, 2, v11
	v_add_nc_u32_e32 v58, v63, v58
	ds_load_b32 v11, v60
	v_mov_b32_e32 v59, v58
	s_waitcnt lgkmcnt(0)
	v_cmpx_lt_f32_e32 v11, v61
; %bb.46:                               ;   in Loop: Header=BB97_6 Depth=1
	v_cndmask_b32_e64 v59, v9, 1.0, vcc_lo
	v_mov_b32_e32 v64, 16
	v_mov_b32_e32 v62, v11
	s_delay_alu instid0(VALU_DEP_3) | instskip(NEXT) | instid1(VALU_DEP_1)
	v_cndmask_b32_e64 v65, v65, v59, s11
	v_dual_cndmask_b32 v66, 0x7f, v47 :: v_dual_mov_b32 v11, v65
	s_delay_alu instid0(VALU_DEP_1)
	v_cndmask_b32_e64 v59, v63, v66, s11
	v_mov_b32_e32 v66, v58
; %bb.47:                               ;   in Loop: Header=BB97_6 Depth=1
	s_or_b32 exec_lo, exec_lo, s13
	v_lshl_add_u32 v60, v64, 2, v60
	v_add_nc_u32_e32 v68, v64, v58
	s_mov_b32 s12, exec_lo
	ds_load_b32 v67, v60
	s_waitcnt lgkmcnt(0)
	v_cmp_lt_f32_e32 vcc_lo, v67, v61
	v_cndmask_b32_e64 v65, -8, 8, vcc_lo
	v_cndmask_b32_e32 v62, v62, v67, vcc_lo
	s_delay_alu instid0(VALU_DEP_2)
	v_lshl_add_u32 v63, v65, 2, v60
	v_dual_mov_b32 v65, -4 :: v_dual_add_nc_u32 v58, v65, v68
	v_cndmask_b32_e32 v66, v66, v68, vcc_lo
	ds_load_b32 v60, v63
	v_mov_b32_e32 v64, v58
	s_waitcnt lgkmcnt(0)
	v_cmpx_lt_f32_e32 v60, v61
; %bb.48:                               ;   in Loop: Header=BB97_6 Depth=1
	v_dual_cndmask_b32 v11, v67, v11 :: v_dual_mov_b32 v62, v60
	v_dual_cndmask_b32 v64, v68, v59 :: v_dual_mov_b32 v65, 4
	v_mov_b32_e32 v66, v58
	s_delay_alu instid0(VALU_DEP_3)
	v_mov_b32_e32 v60, v11
; %bb.49:                               ;   in Loop: Header=BB97_6 Depth=1
	s_or_b32 exec_lo, exec_lo, s12
	s_delay_alu instid0(VALU_DEP_3)
	v_lshl_add_u32 v11, v65, 2, v63
	v_dual_mov_b32 v58, -1 :: v_dual_add_nc_u32 v69, v65, v58
	s_mov_b32 s12, exec_lo
	ds_load_b32 v68, v11
	s_waitcnt lgkmcnt(0)
	v_cmp_lt_f32_e32 vcc_lo, v68, v61
	v_cndmask_b32_e64 v59, -2, 2, vcc_lo
	s_delay_alu instid0(VALU_DEP_1)
	v_lshl_add_u32 v67, v59, 2, v11
	v_add_nc_u32_e32 v11, v59, v69
	v_cndmask_b32_e32 v65, v62, v68, vcc_lo
	v_cndmask_b32_e32 v59, v66, v69, vcc_lo
	ds_load_b32 v63, v67
	v_mov_b32_e32 v62, v11
	s_waitcnt lgkmcnt(0)
	v_cmpx_lt_f32_e32 v63, v61
; %bb.50:                               ;   in Loop: Header=BB97_6 Depth=1
	v_dual_cndmask_b32 v59, v68, v60 :: v_dual_mov_b32 v58, 1
	v_dual_cndmask_b32 v62, v69, v64 :: v_dual_mov_b32 v65, v63
	s_delay_alu instid0(VALU_DEP_2)
	v_mov_b32_e32 v63, v59
	v_mov_b32_e32 v59, v11
; %bb.51:                               ;   in Loop: Header=BB97_6 Depth=1
	s_or_b32 exec_lo, exec_lo, s12
	v_lshl_add_u32 v60, v58, 2, v67
	s_mov_b32 s11, exec_lo
	ds_load_b32 v64, v60
                                        ; implicit-def: $vgpr60
	s_waitcnt lgkmcnt(0)
	v_cmpx_nlt_f32_e32 v64, v61
	s_xor_b32 s11, exec_lo, s11
	s_cbranch_execz .LBB97_53
; %bb.52:                               ;   in Loop: Header=BB97_6 Depth=1
	v_cmp_eq_u32_e32 vcc_lo, 0, v59
	v_cndmask_b32_e32 v60, v65, v8, vcc_lo
	s_delay_alu instid0(VALU_DEP_1) | instskip(SKIP_1) | instid1(VALU_DEP_2)
	v_sub_f32_e32 v61, v60, v61
	v_sub_f32_e32 v60, v64, v60
	v_and_b32_e32 v62, 0x7fffffff, v61
	s_delay_alu instid0(VALU_DEP_1) | instskip(SKIP_1) | instid1(VALU_DEP_2)
	v_div_scale_f32 v63, null, v60, v60, v62
	v_div_scale_f32 v62, vcc_lo, v62, v60, v62
	v_rcp_f32_e32 v64, v63
	s_waitcnt_depctr 0xfff
	v_fma_f32 v65, -v63, v64, 1.0
	s_delay_alu instid0(VALU_DEP_1) | instskip(NEXT) | instid1(VALU_DEP_1)
	v_fmac_f32_e32 v64, v65, v64
	v_mul_f32_e32 v65, v62, v64
	s_delay_alu instid0(VALU_DEP_1) | instskip(NEXT) | instid1(VALU_DEP_1)
	v_fma_f32 v66, -v63, v65, v62
	v_fmac_f32_e32 v65, v66, v64
	s_delay_alu instid0(VALU_DEP_1) | instskip(NEXT) | instid1(VALU_DEP_1)
	v_fma_f32 v62, -v63, v65, v62
                                        ; implicit-def: $vgpr63
	v_div_fmas_f32 v62, v62, v64, v65
                                        ; implicit-def: $vgpr64
	s_delay_alu instid0(VALU_DEP_1)
	v_div_fixup_f32 v60, v62, v60, |v61|
                                        ; implicit-def: $vgpr62
                                        ; implicit-def: $vgpr61
.LBB97_53:                              ;   in Loop: Header=BB97_6 Depth=1
	s_and_not1_saveexec_b32 s11, s11
	s_cbranch_execz .LBB97_55
; %bb.54:                               ;   in Loop: Header=BB97_6 Depth=1
	v_cmp_eq_u32_e32 vcc_lo, 0xff, v62
	v_cndmask_b32_e32 v59, v63, v10, vcc_lo
	s_delay_alu instid0(VALU_DEP_1) | instskip(SKIP_1) | instid1(VALU_DEP_2)
	v_sub_f32_e32 v60, v59, v61
	v_sub_f32_e32 v59, v59, v64
	v_and_b32_e32 v61, 0x7fffffff, v60
	s_delay_alu instid0(VALU_DEP_1) | instskip(SKIP_1) | instid1(VALU_DEP_2)
	v_div_scale_f32 v63, null, v59, v59, v61
	v_div_scale_f32 v61, vcc_lo, v61, v59, v61
	v_rcp_f32_e32 v64, v63
	s_waitcnt_depctr 0xfff
	v_fma_f32 v65, -v63, v64, 1.0
	s_delay_alu instid0(VALU_DEP_1) | instskip(NEXT) | instid1(VALU_DEP_1)
	v_fmac_f32_e32 v64, v65, v64
	v_mul_f32_e32 v65, v61, v64
	s_delay_alu instid0(VALU_DEP_1) | instskip(NEXT) | instid1(VALU_DEP_1)
	v_fma_f32 v66, -v63, v65, v61
	v_fmac_f32_e32 v65, v66, v64
	s_delay_alu instid0(VALU_DEP_1) | instskip(NEXT) | instid1(VALU_DEP_1)
	v_fma_f32 v61, -v63, v65, v61
	v_div_fmas_f32 v61, v61, v64, v65
	s_delay_alu instid0(VALU_DEP_1)
	v_div_fixup_f32 v60, v61, v59, |v60|
	v_mov_b32_e32 v59, v62
.LBB97_55:                              ;   in Loop: Header=BB97_6 Depth=1
	s_or_b32 exec_lo, exec_lo, s11
	v_cvt_f32_f16_e32 v48, v48
	s_mov_b32 s13, exec_lo
	v_mov_b32_e32 v66, -16
	s_delay_alu instid0(VALU_DEP_2) | instskip(NEXT) | instid1(VALU_DEP_1)
	v_mul_f32_e32 v48, v52, v48
	v_cmp_lt_f32_e32 vcc_lo, v9, v48
	v_cndmask_b32_e64 v64, 63, 0xbf, vcc_lo
	v_cndmask_b32_e32 v62, -1.0, v9, vcc_lo
	v_cndmask_b32_e64 v67, 0, 0x7f, vcc_lo
	s_delay_alu instid0(VALU_DEP_3) | instskip(SKIP_4) | instid1(VALU_DEP_1)
	v_lshlrev_b32_e32 v52, 2, v64
	ds_load_b32 v68, v52 offset:29568
	v_add_nc_u32_e32 v52, 0x7380, v52
	s_waitcnt lgkmcnt(0)
	v_cmp_lt_f32_e64 s11, v68, v48
	v_cndmask_b32_e64 v61, 0xffffffe0, 32, s11
	v_cndmask_b32_e64 v65, v62, v68, s11
	;; [unrolled: 1-line block ×3, first 2 shown]
	s_delay_alu instid0(VALU_DEP_3)
	v_lshl_add_u32 v63, v61, 2, v52
	v_add_nc_u32_e32 v61, v64, v61
	ds_load_b32 v52, v63
	v_mov_b32_e32 v62, v61
	s_waitcnt lgkmcnt(0)
	v_cmpx_lt_f32_e32 v52, v48
; %bb.56:                               ;   in Loop: Header=BB97_6 Depth=1
	v_cndmask_b32_e64 v9, v9, 1.0, vcc_lo
	v_dual_cndmask_b32 v62, 0x7f, v47 :: v_dual_mov_b32 v65, v52
	v_dual_mov_b32 v66, 16 :: v_dual_mov_b32 v67, v61
	s_delay_alu instid0(VALU_DEP_3) | instskip(NEXT) | instid1(VALU_DEP_3)
	v_cndmask_b32_e64 v9, v68, v9, s11
	v_cndmask_b32_e64 v62, v64, v62, s11
	s_delay_alu instid0(VALU_DEP_2)
	v_mov_b32_e32 v52, v9
; %bb.57:                               ;   in Loop: Header=BB97_6 Depth=1
	s_or_b32 exec_lo, exec_lo, s13
	v_lshl_add_u32 v9, v66, 2, v63
	v_dual_mov_b32 v66, -4 :: v_dual_add_nc_u32 v69, v66, v61
	s_mov_b32 s12, exec_lo
	ds_load_b32 v68, v9
	s_waitcnt lgkmcnt(0)
	v_cmp_lt_f32_e32 vcc_lo, v68, v48
	v_cndmask_b32_e64 v70, -8, 8, vcc_lo
	v_cndmask_b32_e32 v61, v65, v68, vcc_lo
	v_cndmask_b32_e32 v67, v67, v69, vcc_lo
	s_delay_alu instid0(VALU_DEP_3)
	v_lshl_add_u32 v63, v70, 2, v9
	v_add_nc_u32_e32 v9, v70, v69
	ds_load_b32 v64, v63
	v_mov_b32_e32 v65, v9
	s_waitcnt lgkmcnt(0)
	v_cmpx_lt_f32_e32 v64, v48
; %bb.58:                               ;   in Loop: Header=BB97_6 Depth=1
	v_dual_cndmask_b32 v52, v68, v52 :: v_dual_cndmask_b32 v65, v69, v62
	v_dual_mov_b32 v66, 4 :: v_dual_mov_b32 v61, v64
	s_delay_alu instid0(VALU_DEP_2)
	v_dual_mov_b32 v67, v9 :: v_dual_mov_b32 v64, v52
; %bb.59:                               ;   in Loop: Header=BB97_6 Depth=1
	s_or_b32 exec_lo, exec_lo, s12
	s_delay_alu instid0(VALU_DEP_2)
	v_lshl_add_u32 v52, v66, 2, v63
	v_add_nc_u32_e32 v70, v66, v9
	s_mov_b32 s12, exec_lo
	ds_load_b32 v69, v52
	s_waitcnt lgkmcnt(0)
	v_cmp_lt_f32_e32 vcc_lo, v69, v48
	v_cndmask_b32_e64 v62, -2, 2, vcc_lo
	v_dual_cndmask_b32 v66, v61, v69 :: v_dual_cndmask_b32 v61, v67, v70
	s_delay_alu instid0(VALU_DEP_2)
	v_lshl_add_u32 v68, v62, 2, v52
	v_dual_mov_b32 v52, -1 :: v_dual_add_nc_u32 v9, v62, v70
	ds_load_b32 v63, v68
	v_mov_b32_e32 v62, v9
	s_waitcnt lgkmcnt(0)
	v_cmpx_lt_f32_e32 v63, v48
; %bb.60:                               ;   in Loop: Header=BB97_6 Depth=1
	v_dual_cndmask_b32 v61, v69, v64 :: v_dual_cndmask_b32 v62, v70, v65
	v_mov_b32_e32 v52, 1
	s_delay_alu instid0(VALU_DEP_2)
	v_dual_mov_b32 v66, v63 :: v_dual_mov_b32 v63, v61
	v_mov_b32_e32 v61, v9
; %bb.61:                               ;   in Loop: Header=BB97_6 Depth=1
	s_or_b32 exec_lo, exec_lo, s12
	s_delay_alu instid0(VALU_DEP_3)
	v_lshl_add_u32 v64, v52, 2, v68
	s_mov_b32 s11, exec_lo
	ds_load_b32 v65, v64
                                        ; implicit-def: $vgpr64
	s_waitcnt lgkmcnt(0)
	v_cmpx_nlt_f32_e32 v65, v48
	s_xor_b32 s11, exec_lo, s11
	s_cbranch_execz .LBB97_63
; %bb.62:                               ;   in Loop: Header=BB97_6 Depth=1
	v_cmp_eq_u32_e32 vcc_lo, 0, v61
	v_cndmask_b32_e32 v8, v66, v8, vcc_lo
	s_delay_alu instid0(VALU_DEP_1) | instskip(SKIP_1) | instid1(VALU_DEP_2)
	v_sub_f32_e32 v10, v8, v48
	v_sub_f32_e32 v8, v65, v8
	v_and_b32_e32 v48, 0x7fffffff, v10
	s_delay_alu instid0(VALU_DEP_1) | instskip(SKIP_1) | instid1(VALU_DEP_2)
	v_div_scale_f32 v62, null, v8, v8, v48
	v_div_scale_f32 v48, vcc_lo, v48, v8, v48
	v_rcp_f32_e32 v63, v62
	s_waitcnt_depctr 0xfff
	v_fma_f32 v64, -v62, v63, 1.0
	s_delay_alu instid0(VALU_DEP_1) | instskip(NEXT) | instid1(VALU_DEP_1)
	v_fmac_f32_e32 v63, v64, v63
	v_mul_f32_e32 v64, v48, v63
	s_delay_alu instid0(VALU_DEP_1) | instskip(NEXT) | instid1(VALU_DEP_1)
	v_fma_f32 v65, -v62, v64, v48
	v_fmac_f32_e32 v64, v65, v63
                                        ; implicit-def: $vgpr65
	s_delay_alu instid0(VALU_DEP_1) | instskip(NEXT) | instid1(VALU_DEP_1)
	v_fma_f32 v48, -v62, v64, v48
                                        ; implicit-def: $vgpr62
	v_div_fmas_f32 v48, v48, v63, v64
                                        ; implicit-def: $vgpr63
	s_delay_alu instid0(VALU_DEP_1)
	v_div_fixup_f32 v64, v48, v8, |v10|
                                        ; implicit-def: $vgpr10
                                        ; implicit-def: $vgpr48
.LBB97_63:                              ;   in Loop: Header=BB97_6 Depth=1
	s_and_not1_saveexec_b32 s11, s11
	s_cbranch_execz .LBB97_65
; %bb.64:                               ;   in Loop: Header=BB97_6 Depth=1
	v_cmp_eq_u32_e32 vcc_lo, 0xff, v62
	v_cndmask_b32_e32 v8, v63, v10, vcc_lo
	s_delay_alu instid0(VALU_DEP_1) | instskip(SKIP_1) | instid1(VALU_DEP_2)
	v_sub_f32_e32 v10, v8, v48
	v_sub_f32_e32 v8, v8, v65
	v_and_b32_e32 v48, 0x7fffffff, v10
	s_delay_alu instid0(VALU_DEP_1) | instskip(SKIP_1) | instid1(VALU_DEP_2)
	v_div_scale_f32 v61, null, v8, v8, v48
	v_div_scale_f32 v48, vcc_lo, v48, v8, v48
	v_rcp_f32_e32 v63, v61
	s_waitcnt_depctr 0xfff
	v_fma_f32 v64, -v61, v63, 1.0
	s_delay_alu instid0(VALU_DEP_1) | instskip(NEXT) | instid1(VALU_DEP_1)
	v_fmac_f32_e32 v63, v64, v63
	v_mul_f32_e32 v64, v48, v63
	s_delay_alu instid0(VALU_DEP_1) | instskip(NEXT) | instid1(VALU_DEP_1)
	v_fma_f32 v65, -v61, v64, v48
	v_fmac_f32_e32 v64, v65, v63
	s_delay_alu instid0(VALU_DEP_1) | instskip(SKIP_1) | instid1(VALU_DEP_2)
	v_fma_f32 v48, -v61, v64, v48
	v_mov_b32_e32 v61, v62
	v_div_fmas_f32 v48, v48, v63, v64
	s_delay_alu instid0(VALU_DEP_1)
	v_div_fixup_f32 v64, v48, v8, |v10|
.LBB97_65:                              ;   in Loop: Header=BB97_6 Depth=1
	s_or_b32 exec_lo, exec_lo, s11
	v_add_nc_u32_e32 v10, v55, v54
	v_add_nc_u32_e32 v8, v58, v11
	v_cmp_nle_f32_e32 vcc_lo, v60, v2
	v_add_nc_u32_e32 v9, v52, v9
	v_add_nc_u32_e32 v11, v50, v49
	s_barrier
	v_cndmask_b32_e32 v2, v59, v8, vcc_lo
	v_cmp_nle_f32_e32 vcc_lo, v57, v5
	buffer_gl0_inv
	v_cndmask_b32_e32 v5, v56, v10, vcc_lo
	v_cmp_nle_f32_e32 vcc_lo, v53, v4
	v_cndmask_b32_e32 v4, v51, v11, vcc_lo
	v_cmp_nle_f32_e32 vcc_lo, v64, v3
	v_cndmask_b32_e32 v3, v61, v9, vcc_lo
	ds_store_b8 v42, v4 offset:25344
	ds_store_b8 v42, v5 offset:25345
	ds_store_b8 v42, v2 offset:25346
	ds_store_b8 v42, v3 offset:25347
	; wave barrier
	ds_load_u8 v8, v20 offset:25344
	ds_load_u8 v5, v43 offset:25344
	;; [unrolled: 1-line block ×3, first 2 shown]
	v_add_co_u32 v2, vcc_lo, v45, s24
	v_add_co_ci_u32_e32 v3, vcc_lo, s25, v46, vcc_lo
	s_and_saveexec_b32 s11, s7
	s_delay_alu instid0(SALU_CYCLE_1)
	s_xor_b32 s7, exec_lo, s11
	s_cbranch_execnz .LBB97_72
; %bb.66:                               ;   in Loop: Header=BB97_6 Depth=1
	s_or_b32 exec_lo, exec_lo, s7
	s_and_saveexec_b32 s7, s8
	s_cbranch_execnz .LBB97_73
.LBB97_67:                              ;   in Loop: Header=BB97_6 Depth=1
	s_or_b32 exec_lo, exec_lo, s7
	s_and_saveexec_b32 s7, s9
	s_cbranch_execnz .LBB97_74
.LBB97_68:                              ;   in Loop: Header=BB97_6 Depth=1
	s_or_b32 exec_lo, exec_lo, s7
	s_and_saveexec_b32 s7, s10
	s_cbranch_execz .LBB97_5
	s_branch .LBB97_75
.LBB97_69:                              ;   in Loop: Header=BB97_6 Depth=1
	global_load_b32 v8, v[6:7], off
	v_mov_b32_e32 v3, v1
	v_mov_b32_e32 v2, v1
	s_delay_alu instid0(VALU_DEP_2) | instskip(NEXT) | instid1(VALU_DEP_2)
	v_mov_b32_e32 v5, v3
	v_dual_mov_b32 v4, v2 :: v_dual_mov_b32 v3, v1
	v_mov_b32_e32 v2, v0
	s_or_b32 exec_lo, exec_lo, s11
	s_and_saveexec_b32 s11, s4
	s_cbranch_execz .LBB97_22
.LBB97_70:                              ;   in Loop: Header=BB97_6 Depth=1
	global_load_b32 v3, v[6:7], off offset:128
	s_or_b32 exec_lo, exec_lo, s11
	s_and_saveexec_b32 s11, s5
	s_cbranch_execz .LBB97_23
.LBB97_71:                              ;   in Loop: Header=BB97_6 Depth=1
	global_load_b32 v4, v[6:7], off offset:256
	s_or_b32 exec_lo, exec_lo, s11
	s_and_saveexec_b32 s11, s6
	s_cbranch_execnz .LBB97_24
	s_branch .LBB97_25
.LBB97_72:                              ;   in Loop: Header=BB97_6 Depth=1
	ds_load_u8 v9, v19 offset:25344
	s_waitcnt lgkmcnt(0)
	global_store_b8 v[2:3], v9, off
	s_or_b32 exec_lo, exec_lo, s7
	s_and_saveexec_b32 s7, s8
	s_cbranch_execz .LBB97_67
.LBB97_73:                              ;   in Loop: Header=BB97_6 Depth=1
	s_waitcnt lgkmcnt(2)
	global_store_b8 v[2:3], v8, off offset:32
	s_or_b32 exec_lo, exec_lo, s7
	s_and_saveexec_b32 s7, s9
	s_cbranch_execz .LBB97_68
.LBB97_74:                              ;   in Loop: Header=BB97_6 Depth=1
	s_waitcnt lgkmcnt(1)
	global_store_b8 v[2:3], v5, off offset:64
	s_or_b32 exec_lo, exec_lo, s7
	s_and_saveexec_b32 s7, s10
	s_cbranch_execz .LBB97_5
.LBB97_75:                              ;   in Loop: Header=BB97_6 Depth=1
	s_waitcnt lgkmcnt(0)
	global_store_b8 v[2:3], v4, off offset:96
	s_branch .LBB97_5
.LBB97_76:
	s_nop 0
	s_sendmsg sendmsg(MSG_DEALLOC_VGPRS)
	s_endpgm
	.section	.rodata,"a",@progbits
	.p2align	6, 0x0
	.amdhsa_kernel _Z18kQuantizeBlockwiseI6__halfLi4096ELi4ELi1ELi0EEvPfPT_S1_PhS1_ii
		.amdhsa_group_segment_fixed_size 30724
		.amdhsa_private_segment_fixed_size 0
		.amdhsa_kernarg_size 304
		.amdhsa_user_sgpr_count 15
		.amdhsa_user_sgpr_dispatch_ptr 0
		.amdhsa_user_sgpr_queue_ptr 0
		.amdhsa_user_sgpr_kernarg_segment_ptr 1
		.amdhsa_user_sgpr_dispatch_id 0
		.amdhsa_user_sgpr_private_segment_size 0
		.amdhsa_wavefront_size32 1
		.amdhsa_uses_dynamic_stack 0
		.amdhsa_enable_private_segment 0
		.amdhsa_system_sgpr_workgroup_id_x 1
		.amdhsa_system_sgpr_workgroup_id_y 0
		.amdhsa_system_sgpr_workgroup_id_z 0
		.amdhsa_system_sgpr_workgroup_info 0
		.amdhsa_system_vgpr_workitem_id 0
		.amdhsa_next_free_vgpr 71
		.amdhsa_next_free_sgpr 27
		.amdhsa_reserve_vcc 1
		.amdhsa_float_round_mode_32 0
		.amdhsa_float_round_mode_16_64 0
		.amdhsa_float_denorm_mode_32 3
		.amdhsa_float_denorm_mode_16_64 3
		.amdhsa_dx10_clamp 1
		.amdhsa_ieee_mode 1
		.amdhsa_fp16_overflow 0
		.amdhsa_workgroup_processor_mode 1
		.amdhsa_memory_ordered 1
		.amdhsa_forward_progress 0
		.amdhsa_shared_vgpr_count 0
		.amdhsa_exception_fp_ieee_invalid_op 0
		.amdhsa_exception_fp_denorm_src 0
		.amdhsa_exception_fp_ieee_div_zero 0
		.amdhsa_exception_fp_ieee_overflow 0
		.amdhsa_exception_fp_ieee_underflow 0
		.amdhsa_exception_fp_ieee_inexact 0
		.amdhsa_exception_int_div_zero 0
	.end_amdhsa_kernel
	.section	.text._Z18kQuantizeBlockwiseI6__halfLi4096ELi4ELi1ELi0EEvPfPT_S1_PhS1_ii,"axG",@progbits,_Z18kQuantizeBlockwiseI6__halfLi4096ELi4ELi1ELi0EEvPfPT_S1_PhS1_ii,comdat
.Lfunc_end97:
	.size	_Z18kQuantizeBlockwiseI6__halfLi4096ELi4ELi1ELi0EEvPfPT_S1_PhS1_ii, .Lfunc_end97-_Z18kQuantizeBlockwiseI6__halfLi4096ELi4ELi1ELi0EEvPfPT_S1_PhS1_ii
                                        ; -- End function
	.section	.AMDGPU.csdata,"",@progbits
; Kernel info:
; codeLenInByte = 5580
; NumSgprs: 29
; NumVgprs: 71
; ScratchSize: 0
; MemoryBound: 0
; FloatMode: 240
; IeeeMode: 1
; LDSByteSize: 30724 bytes/workgroup (compile time only)
; SGPRBlocks: 3
; VGPRBlocks: 8
; NumSGPRsForWavesPerEU: 29
; NumVGPRsForWavesPerEU: 71
; Occupancy: 16
; WaveLimiterHint : 0
; COMPUTE_PGM_RSRC2:SCRATCH_EN: 0
; COMPUTE_PGM_RSRC2:USER_SGPR: 15
; COMPUTE_PGM_RSRC2:TRAP_HANDLER: 0
; COMPUTE_PGM_RSRC2:TGID_X_EN: 1
; COMPUTE_PGM_RSRC2:TGID_Y_EN: 0
; COMPUTE_PGM_RSRC2:TGID_Z_EN: 0
; COMPUTE_PGM_RSRC2:TIDIG_COMP_CNT: 0
	.section	.text._Z18kQuantizeBlockwiseI6__halfLi2048ELi4ELi0ELi0EEvPfPT_S1_PhS1_ii,"axG",@progbits,_Z18kQuantizeBlockwiseI6__halfLi2048ELi4ELi0ELi0EEvPfPT_S1_PhS1_ii,comdat
